;; amdgpu-corpus repo=zjin-lcf/HeCBench kind=compiled arch=gfx1030 opt=O3
	.amdgcn_target "amdgcn-amd-amdhsa--gfx1030"
	.amdhsa_code_object_version 6
	.text
	.protected	_Z11MRCGradientiPKiPKfS2_S2_fPfS3_ ; -- Begin function _Z11MRCGradientiPKiPKfS2_S2_fPfS3_
	.globl	_Z11MRCGradientiPKiPKfS2_S2_fPfS3_
	.p2align	8
	.type	_Z11MRCGradientiPKiPKfS2_S2_fPfS3_,@function
_Z11MRCGradientiPKiPKfS2_S2_fPfS3_:     ; @_Z11MRCGradientiPKiPKfS2_S2_fPfS3_
; %bb.0:
	s_clause 0x1
	s_load_dword s0, s[4:5], 0x4c
	s_load_dword s1, s[4:5], 0x0
	s_waitcnt lgkmcnt(0)
	s_and_b32 s0, s0, 0xffff
	v_mad_u64_u32 v[0:1], null, s6, s0, v[0:1]
	s_mov_b32 s0, exec_lo
	v_cmpx_gt_i32_e64 s1, v0
	s_cbranch_execz .LBB0_6
; %bb.1:
	s_load_dwordx8 s[8:15], s[4:5], 0x8
	v_ashrrev_i32_e32 v1, 31, v0
	s_clause 0x1
	s_load_dword s6, s[4:5], 0x28
	s_load_dwordx4 s[0:3], s[4:5], 0x30
	v_lshlrev_b64 v[0:1], 2, v[0:1]
	s_waitcnt lgkmcnt(0)
	v_add_co_u32 v2, vcc_lo, s8, v0
	v_add_co_ci_u32_e64 v3, null, s9, v1, vcc_lo
	v_add_co_u32 v4, vcc_lo, s10, v0
	v_add_co_ci_u32_e64 v5, null, s11, v1, vcc_lo
	v_add_co_u32 v6, vcc_lo, s12, v0
	global_load_dword v2, v[2:3], off
	v_add_co_ci_u32_e64 v7, null, s13, v1, vcc_lo
	global_load_dword v4, v[4:5], off
	global_load_dword v5, v[6:7], off
	s_waitcnt vmcnt(2)
	v_sub_nc_u32_e32 v3, 0, v2
	s_waitcnt vmcnt(0)
	v_sub_f32_e32 v4, v4, v5
	v_cvt_f32_i32_e32 v3, v3
	v_fma_f32 v4, v4, v3, s6
	v_cmp_ngt_f32_e32 vcc_lo, 0, v4
                                        ; implicit-def: $vgpr4
	s_and_saveexec_b32 s4, vcc_lo
	s_xor_b32 s4, exec_lo, s4
	s_cbranch_execz .LBB0_3
; %bb.2:
	v_add_co_u32 v4, vcc_lo, s14, v0
	v_add_co_ci_u32_e64 v5, null, s15, v1, vcc_lo
	global_load_dword v4, v[4:5], off
	v_cvt_f32_i32_e32 v5, v2
	v_add_co_u32 v2, vcc_lo, s0, v0
	s_waitcnt vmcnt(0)
	v_mul_f32_e32 v6, v4, v3
	v_add_co_ci_u32_e64 v3, null, s1, v1, vcc_lo
	v_mul_f32_e32 v4, v4, v5
	global_store_dword v[2:3], v6, off
.LBB0_3:
	s_or_saveexec_b32 s4, s4
	v_mov_b32_e32 v2, s2
	v_mov_b32_e32 v3, s3
	s_xor_b32 exec_lo, exec_lo, s4
	s_cbranch_execz .LBB0_5
; %bb.4:
	v_add_co_u32 v5, vcc_lo, s2, v0
	v_mov_b32_e32 v3, s1
	v_add_co_ci_u32_e64 v6, null, s3, v1, vcc_lo
	v_mov_b32_e32 v4, 0
	v_mov_b32_e32 v2, s0
	global_store_dword v[5:6], v4, off
.LBB0_5:
	s_or_b32 exec_lo, exec_lo, s4
	v_add_co_u32 v0, vcc_lo, v2, v0
	v_add_co_ci_u32_e64 v1, null, v3, v1, vcc_lo
	global_store_dword v[0:1], v4, off
.LBB0_6:
	s_endpgm
	.section	.rodata,"a",@progbits
	.p2align	6, 0x0
	.amdhsa_kernel _Z11MRCGradientiPKiPKfS2_S2_fPfS3_
		.amdhsa_group_segment_fixed_size 0
		.amdhsa_private_segment_fixed_size 0
		.amdhsa_kernarg_size 320
		.amdhsa_user_sgpr_count 6
		.amdhsa_user_sgpr_private_segment_buffer 1
		.amdhsa_user_sgpr_dispatch_ptr 0
		.amdhsa_user_sgpr_queue_ptr 0
		.amdhsa_user_sgpr_kernarg_segment_ptr 1
		.amdhsa_user_sgpr_dispatch_id 0
		.amdhsa_user_sgpr_flat_scratch_init 0
		.amdhsa_user_sgpr_private_segment_size 0
		.amdhsa_wavefront_size32 1
		.amdhsa_uses_dynamic_stack 0
		.amdhsa_system_sgpr_private_segment_wavefront_offset 0
		.amdhsa_system_sgpr_workgroup_id_x 1
		.amdhsa_system_sgpr_workgroup_id_y 0
		.amdhsa_system_sgpr_workgroup_id_z 0
		.amdhsa_system_sgpr_workgroup_info 0
		.amdhsa_system_vgpr_workitem_id 0
		.amdhsa_next_free_vgpr 8
		.amdhsa_next_free_sgpr 16
		.amdhsa_reserve_vcc 1
		.amdhsa_reserve_flat_scratch 0
		.amdhsa_float_round_mode_32 0
		.amdhsa_float_round_mode_16_64 0
		.amdhsa_float_denorm_mode_32 3
		.amdhsa_float_denorm_mode_16_64 3
		.amdhsa_dx10_clamp 1
		.amdhsa_ieee_mode 1
		.amdhsa_fp16_overflow 0
		.amdhsa_workgroup_processor_mode 1
		.amdhsa_memory_ordered 1
		.amdhsa_forward_progress 1
		.amdhsa_shared_vgpr_count 0
		.amdhsa_exception_fp_ieee_invalid_op 0
		.amdhsa_exception_fp_denorm_src 0
		.amdhsa_exception_fp_ieee_div_zero 0
		.amdhsa_exception_fp_ieee_overflow 0
		.amdhsa_exception_fp_ieee_underflow 0
		.amdhsa_exception_fp_ieee_inexact 0
		.amdhsa_exception_int_div_zero 0
	.end_amdhsa_kernel
	.text
.Lfunc_end0:
	.size	_Z11MRCGradientiPKiPKfS2_S2_fPfS3_, .Lfunc_end0-_Z11MRCGradientiPKiPKfS2_S2_fPfS3_
                                        ; -- End function
	.set _Z11MRCGradientiPKiPKfS2_S2_fPfS3_.num_vgpr, 8
	.set _Z11MRCGradientiPKiPKfS2_S2_fPfS3_.num_agpr, 0
	.set _Z11MRCGradientiPKiPKfS2_S2_fPfS3_.numbered_sgpr, 16
	.set _Z11MRCGradientiPKiPKfS2_S2_fPfS3_.num_named_barrier, 0
	.set _Z11MRCGradientiPKiPKfS2_S2_fPfS3_.private_seg_size, 0
	.set _Z11MRCGradientiPKiPKfS2_S2_fPfS3_.uses_vcc, 1
	.set _Z11MRCGradientiPKiPKfS2_S2_fPfS3_.uses_flat_scratch, 0
	.set _Z11MRCGradientiPKiPKfS2_S2_fPfS3_.has_dyn_sized_stack, 0
	.set _Z11MRCGradientiPKiPKfS2_S2_fPfS3_.has_recursion, 0
	.set _Z11MRCGradientiPKiPKfS2_S2_fPfS3_.has_indirect_call, 0
	.section	.AMDGPU.csdata,"",@progbits
; Kernel info:
; codeLenInByte = 368
; TotalNumSgprs: 18
; NumVgprs: 8
; ScratchSize: 0
; MemoryBound: 0
; FloatMode: 240
; IeeeMode: 1
; LDSByteSize: 0 bytes/workgroup (compile time only)
; SGPRBlocks: 0
; VGPRBlocks: 0
; NumSGPRsForWavesPerEU: 18
; NumVGPRsForWavesPerEU: 8
; Occupancy: 16
; WaveLimiterHint : 0
; COMPUTE_PGM_RSRC2:SCRATCH_EN: 0
; COMPUTE_PGM_RSRC2:USER_SGPR: 6
; COMPUTE_PGM_RSRC2:TRAP_HANDLER: 0
; COMPUTE_PGM_RSRC2:TGID_X_EN: 1
; COMPUTE_PGM_RSRC2:TGID_Y_EN: 0
; COMPUTE_PGM_RSRC2:TGID_Z_EN: 0
; COMPUTE_PGM_RSRC2:TIDIG_COMP_CNT: 0
	.text
	.protected	_Z12MRCGradient2iPKiPKfS2_S2_fPfS3_ ; -- Begin function _Z12MRCGradient2iPKiPKfS2_S2_fPfS3_
	.globl	_Z12MRCGradient2iPKiPKfS2_S2_fPfS3_
	.p2align	8
	.type	_Z12MRCGradient2iPKiPKfS2_S2_fPfS3_,@function
_Z12MRCGradient2iPKiPKfS2_S2_fPfS3_:    ; @_Z12MRCGradient2iPKiPKfS2_S2_fPfS3_
; %bb.0:
	s_clause 0x1
	s_load_dword s0, s[4:5], 0x4c
	s_load_dword s1, s[4:5], 0x0
	s_waitcnt lgkmcnt(0)
	s_and_b32 s0, s0, 0xffff
	v_mad_u64_u32 v[0:1], null, s6, s0, v[0:1]
	s_mov_b32 s0, exec_lo
	v_cmpx_gt_i32_e64 s1, v0
	s_cbranch_execz .LBB1_2
; %bb.1:
	s_load_dwordx8 s[8:15], s[4:5], 0x8
	v_ashrrev_i32_e32 v1, 31, v0
	v_lshlrev_b64 v[0:1], 2, v[0:1]
	s_waitcnt lgkmcnt(0)
	v_add_co_u32 v2, vcc_lo, s8, v0
	v_add_co_ci_u32_e64 v3, null, s9, v1, vcc_lo
	v_add_co_u32 v4, vcc_lo, s10, v0
	v_add_co_ci_u32_e64 v5, null, s11, v1, vcc_lo
	;; [unrolled: 2-line block ×3, first 2 shown]
	global_load_dword v8, v[2:3], off
	global_load_dword v4, v[4:5], off
	global_load_dword v5, v[6:7], off
	v_add_co_u32 v2, vcc_lo, s14, v0
	v_add_co_ci_u32_e64 v3, null, s15, v1, vcc_lo
	global_load_dword v2, v[2:3], off
	s_clause 0x1
	s_load_dword s6, s[4:5], 0x28
	s_load_dwordx4 s[0:3], s[4:5], 0x30
	s_waitcnt vmcnt(3)
	v_cvt_f32_i32_e32 v3, v8
	s_waitcnt vmcnt(1)
	v_sub_f32_e32 v4, v4, v5
	v_mul_f32_e32 v4, v4, v3
	s_waitcnt vmcnt(0)
	v_mul_f32_e64 v5, v2, -v3
	v_mul_f32_e32 v6, v2, v3
	s_waitcnt lgkmcnt(0)
	v_cmp_lt_f32_e32 vcc_lo, s6, v4
	v_add_co_u32 v2, s0, s0, v0
	v_add_co_ci_u32_e64 v3, null, s1, v1, s0
	v_cndmask_b32_e64 v4, v5, 0, vcc_lo
	v_cndmask_b32_e64 v5, v6, 0, vcc_lo
	v_add_co_u32 v0, vcc_lo, s2, v0
	v_add_co_ci_u32_e64 v1, null, s3, v1, vcc_lo
	global_store_dword v[2:3], v4, off
	global_store_dword v[0:1], v5, off
.LBB1_2:
	s_endpgm
	.section	.rodata,"a",@progbits
	.p2align	6, 0x0
	.amdhsa_kernel _Z12MRCGradient2iPKiPKfS2_S2_fPfS3_
		.amdhsa_group_segment_fixed_size 0
		.amdhsa_private_segment_fixed_size 0
		.amdhsa_kernarg_size 320
		.amdhsa_user_sgpr_count 6
		.amdhsa_user_sgpr_private_segment_buffer 1
		.amdhsa_user_sgpr_dispatch_ptr 0
		.amdhsa_user_sgpr_queue_ptr 0
		.amdhsa_user_sgpr_kernarg_segment_ptr 1
		.amdhsa_user_sgpr_dispatch_id 0
		.amdhsa_user_sgpr_flat_scratch_init 0
		.amdhsa_user_sgpr_private_segment_size 0
		.amdhsa_wavefront_size32 1
		.amdhsa_uses_dynamic_stack 0
		.amdhsa_system_sgpr_private_segment_wavefront_offset 0
		.amdhsa_system_sgpr_workgroup_id_x 1
		.amdhsa_system_sgpr_workgroup_id_y 0
		.amdhsa_system_sgpr_workgroup_id_z 0
		.amdhsa_system_sgpr_workgroup_info 0
		.amdhsa_system_vgpr_workitem_id 0
		.amdhsa_next_free_vgpr 9
		.amdhsa_next_free_sgpr 16
		.amdhsa_reserve_vcc 1
		.amdhsa_reserve_flat_scratch 0
		.amdhsa_float_round_mode_32 0
		.amdhsa_float_round_mode_16_64 0
		.amdhsa_float_denorm_mode_32 3
		.amdhsa_float_denorm_mode_16_64 3
		.amdhsa_dx10_clamp 1
		.amdhsa_ieee_mode 1
		.amdhsa_fp16_overflow 0
		.amdhsa_workgroup_processor_mode 1
		.amdhsa_memory_ordered 1
		.amdhsa_forward_progress 1
		.amdhsa_shared_vgpr_count 0
		.amdhsa_exception_fp_ieee_invalid_op 0
		.amdhsa_exception_fp_denorm_src 0
		.amdhsa_exception_fp_ieee_div_zero 0
		.amdhsa_exception_fp_ieee_overflow 0
		.amdhsa_exception_fp_ieee_underflow 0
		.amdhsa_exception_fp_ieee_inexact 0
		.amdhsa_exception_int_div_zero 0
	.end_amdhsa_kernel
	.text
.Lfunc_end1:
	.size	_Z12MRCGradient2iPKiPKfS2_S2_fPfS3_, .Lfunc_end1-_Z12MRCGradient2iPKiPKfS2_S2_fPfS3_
                                        ; -- End function
	.set _Z12MRCGradient2iPKiPKfS2_S2_fPfS3_.num_vgpr, 9
	.set _Z12MRCGradient2iPKiPKfS2_S2_fPfS3_.num_agpr, 0
	.set _Z12MRCGradient2iPKiPKfS2_S2_fPfS3_.numbered_sgpr, 16
	.set _Z12MRCGradient2iPKiPKfS2_S2_fPfS3_.num_named_barrier, 0
	.set _Z12MRCGradient2iPKiPKfS2_S2_fPfS3_.private_seg_size, 0
	.set _Z12MRCGradient2iPKiPKfS2_S2_fPfS3_.uses_vcc, 1
	.set _Z12MRCGradient2iPKiPKfS2_S2_fPfS3_.uses_flat_scratch, 0
	.set _Z12MRCGradient2iPKiPKfS2_S2_fPfS3_.has_dyn_sized_stack, 0
	.set _Z12MRCGradient2iPKiPKfS2_S2_fPfS3_.has_recursion, 0
	.set _Z12MRCGradient2iPKiPKfS2_S2_fPfS3_.has_indirect_call, 0
	.section	.AMDGPU.csdata,"",@progbits
; Kernel info:
; codeLenInByte = 308
; TotalNumSgprs: 18
; NumVgprs: 9
; ScratchSize: 0
; MemoryBound: 0
; FloatMode: 240
; IeeeMode: 1
; LDSByteSize: 0 bytes/workgroup (compile time only)
; SGPRBlocks: 0
; VGPRBlocks: 1
; NumSGPRsForWavesPerEU: 18
; NumVGPRsForWavesPerEU: 9
; Occupancy: 16
; WaveLimiterHint : 0
; COMPUTE_PGM_RSRC2:SCRATCH_EN: 0
; COMPUTE_PGM_RSRC2:USER_SGPR: 6
; COMPUTE_PGM_RSRC2:TRAP_HANDLER: 0
; COMPUTE_PGM_RSRC2:TGID_X_EN: 1
; COMPUTE_PGM_RSRC2:TGID_Y_EN: 0
; COMPUTE_PGM_RSRC2:TGID_Z_EN: 0
; COMPUTE_PGM_RSRC2:TIDIG_COMP_CNT: 0
	.text
	.protected	_Z12MRCGradient3iPKiPKfS2_S2_fPfS3_ ; -- Begin function _Z12MRCGradient3iPKiPKfS2_S2_fPfS3_
	.globl	_Z12MRCGradient3iPKiPKfS2_S2_fPfS3_
	.p2align	8
	.type	_Z12MRCGradient3iPKiPKfS2_S2_fPfS3_,@function
_Z12MRCGradient3iPKiPKfS2_S2_fPfS3_:    ; @_Z12MRCGradient3iPKiPKfS2_S2_fPfS3_
; %bb.0:
	s_clause 0x4
	s_load_dword s0, s[4:5], 0x4c
	s_load_dword s3, s[4:5], 0x0
	;; [unrolled: 1-line block ×3, first 2 shown]
	s_load_dwordx4 s[16:19], s[4:5], 0x30
	s_load_dwordx8 s[8:15], s[4:5], 0x8
	s_waitcnt lgkmcnt(0)
	s_and_b32 s4, s0, 0xffff
	s_ashr_i32 s0, s3, 31
	v_mad_u64_u32 v[0:1], null, s6, s4, v[0:1]
	s_lshr_b32 s0, s0, 30
	s_mov_b32 s6, exec_lo
	s_add_i32 s0, s3, s0
	s_ashr_i32 s5, s0, 2
	v_cmpx_gt_i32_e64 s5, v0
	s_cbranch_execz .LBB2_2
; %bb.1:
	v_ashrrev_i32_e32 v1, 31, v0
	v_lshlrev_b64 v[17:18], 4, v[0:1]
	v_add_co_u32 v1, vcc_lo, s8, v17
	v_add_co_ci_u32_e64 v2, null, s9, v18, vcc_lo
	v_add_co_u32 v5, vcc_lo, s10, v17
	v_add_co_ci_u32_e64 v6, null, s11, v18, vcc_lo
	;; [unrolled: 2-line block ×3, first 2 shown]
	global_load_dwordx4 v[1:4], v[1:2], off
	global_load_dwordx4 v[5:8], v[5:6], off
	;; [unrolled: 1-line block ×3, first 2 shown]
	v_add_co_u32 v13, vcc_lo, s14, v17
	v_add_co_ci_u32_e64 v14, null, s15, v18, vcc_lo
	global_load_dwordx4 v[13:16], v[13:14], off
	s_waitcnt vmcnt(3)
	v_cvt_f32_i32_e32 v1, v1
	v_cvt_f32_i32_e32 v2, v2
	s_waitcnt vmcnt(1)
	v_sub_f32_e32 v5, v5, v9
	v_cvt_f32_i32_e32 v3, v3
	v_cvt_f32_i32_e32 v4, v4
	v_sub_f32_e32 v6, v6, v10
	v_sub_f32_e32 v7, v7, v11
	;; [unrolled: 1-line block ×3, first 2 shown]
	v_fma_f32 v5, -v1, v5, s7
	v_add_co_u32 v9, vcc_lo, s16, v17
	v_fma_f32 v6, -v2, v6, s7
	v_fma_f32 v7, -v3, v7, s7
	;; [unrolled: 1-line block ×3, first 2 shown]
	v_add_co_ci_u32_e64 v10, null, s17, v18, vcc_lo
	s_waitcnt vmcnt(0)
	v_mul_f32_e64 v11, v13, -v1
	v_mul_f32_e32 v12, v13, v1
	v_cmp_gt_f32_e32 vcc_lo, 0, v5
	v_mul_f32_e64 v13, v14, -v2
	v_mul_f32_e64 v19, v15, -v3
	;; [unrolled: 1-line block ×3, first 2 shown]
	v_cmp_gt_f32_e64 s0, 0, v6
	v_cmp_gt_f32_e64 s1, 0, v7
	;; [unrolled: 1-line block ×3, first 2 shown]
	v_mul_f32_e32 v14, v14, v2
	v_mul_f32_e32 v15, v15, v3
	;; [unrolled: 1-line block ×3, first 2 shown]
	v_cndmask_b32_e64 v1, v11, 0, vcc_lo
	v_cndmask_b32_e64 v5, v12, 0, vcc_lo
	v_add_co_u32 v11, vcc_lo, s18, v17
	v_cndmask_b32_e64 v2, v13, 0, s0
	v_cndmask_b32_e64 v3, v19, 0, s1
	;; [unrolled: 1-line block ×6, first 2 shown]
	v_add_co_ci_u32_e64 v12, null, s19, v18, vcc_lo
	global_store_dwordx4 v[9:10], v[1:4], off
	global_store_dwordx4 v[11:12], v[5:8], off
.LBB2_2:
	s_or_b32 exec_lo, exec_lo, s6
	v_lshl_add_u32 v0, s5, 2, v0
	s_mov_b32 s0, exec_lo
	v_cmpx_gt_i32_e64 s3, v0
	s_cbranch_execz .LBB2_5
; %bb.3:
	s_mov_b32 s2, 0
.LBB2_4:                                ; =>This Inner Loop Header: Depth=1
	v_ashrrev_i32_e32 v1, 31, v0
	v_lshlrev_b64 v[1:2], 2, v[0:1]
	v_add_nc_u32_e32 v0, s4, v0
	v_add_co_u32 v3, vcc_lo, s8, v1
	v_add_co_ci_u32_e64 v4, null, s9, v2, vcc_lo
	v_add_co_u32 v5, vcc_lo, s10, v1
	v_add_co_ci_u32_e64 v6, null, s11, v2, vcc_lo
	;; [unrolled: 2-line block ×3, first 2 shown]
	global_load_dword v9, v[3:4], off
	global_load_dword v5, v[5:6], off
	;; [unrolled: 1-line block ×3, first 2 shown]
	v_add_co_u32 v3, vcc_lo, s14, v1
	v_add_co_ci_u32_e64 v4, null, s15, v2, vcc_lo
	v_cmp_le_i32_e32 vcc_lo, s3, v0
	global_load_dword v3, v[3:4], off
	s_or_b32 s2, vcc_lo, s2
	s_waitcnt vmcnt(3)
	v_cvt_f32_i32_e32 v4, v9
	s_waitcnt vmcnt(1)
	v_sub_f32_e32 v5, v5, v6
	v_mul_f32_e32 v5, v5, v4
	s_waitcnt vmcnt(0)
	v_mul_f32_e64 v6, v3, -v4
	v_mul_f32_e32 v7, v3, v4
	v_cmp_lt_f32_e64 s0, s7, v5
	v_add_co_u32 v3, s1, s16, v1
	v_add_co_ci_u32_e64 v4, null, s17, v2, s1
	v_cndmask_b32_e64 v5, v6, 0, s0
	v_cndmask_b32_e64 v6, v7, 0, s0
	v_add_co_u32 v1, s0, s18, v1
	v_add_co_ci_u32_e64 v2, null, s19, v2, s0
	global_store_dword v[3:4], v5, off
	global_store_dword v[1:2], v6, off
	s_andn2_b32 exec_lo, exec_lo, s2
	s_cbranch_execnz .LBB2_4
.LBB2_5:
	s_endpgm
	.section	.rodata,"a",@progbits
	.p2align	6, 0x0
	.amdhsa_kernel _Z12MRCGradient3iPKiPKfS2_S2_fPfS3_
		.amdhsa_group_segment_fixed_size 0
		.amdhsa_private_segment_fixed_size 0
		.amdhsa_kernarg_size 320
		.amdhsa_user_sgpr_count 6
		.amdhsa_user_sgpr_private_segment_buffer 1
		.amdhsa_user_sgpr_dispatch_ptr 0
		.amdhsa_user_sgpr_queue_ptr 0
		.amdhsa_user_sgpr_kernarg_segment_ptr 1
		.amdhsa_user_sgpr_dispatch_id 0
		.amdhsa_user_sgpr_flat_scratch_init 0
		.amdhsa_user_sgpr_private_segment_size 0
		.amdhsa_wavefront_size32 1
		.amdhsa_uses_dynamic_stack 0
		.amdhsa_system_sgpr_private_segment_wavefront_offset 0
		.amdhsa_system_sgpr_workgroup_id_x 1
		.amdhsa_system_sgpr_workgroup_id_y 0
		.amdhsa_system_sgpr_workgroup_id_z 0
		.amdhsa_system_sgpr_workgroup_info 0
		.amdhsa_system_vgpr_workitem_id 0
		.amdhsa_next_free_vgpr 21
		.amdhsa_next_free_sgpr 20
		.amdhsa_reserve_vcc 1
		.amdhsa_reserve_flat_scratch 0
		.amdhsa_float_round_mode_32 0
		.amdhsa_float_round_mode_16_64 0
		.amdhsa_float_denorm_mode_32 3
		.amdhsa_float_denorm_mode_16_64 3
		.amdhsa_dx10_clamp 1
		.amdhsa_ieee_mode 1
		.amdhsa_fp16_overflow 0
		.amdhsa_workgroup_processor_mode 1
		.amdhsa_memory_ordered 1
		.amdhsa_forward_progress 1
		.amdhsa_shared_vgpr_count 0
		.amdhsa_exception_fp_ieee_invalid_op 0
		.amdhsa_exception_fp_denorm_src 0
		.amdhsa_exception_fp_ieee_div_zero 0
		.amdhsa_exception_fp_ieee_overflow 0
		.amdhsa_exception_fp_ieee_underflow 0
		.amdhsa_exception_fp_ieee_inexact 0
		.amdhsa_exception_int_div_zero 0
	.end_amdhsa_kernel
	.text
.Lfunc_end2:
	.size	_Z12MRCGradient3iPKiPKfS2_S2_fPfS3_, .Lfunc_end2-_Z12MRCGradient3iPKiPKfS2_S2_fPfS3_
                                        ; -- End function
	.set _Z12MRCGradient3iPKiPKfS2_S2_fPfS3_.num_vgpr, 21
	.set _Z12MRCGradient3iPKiPKfS2_S2_fPfS3_.num_agpr, 0
	.set _Z12MRCGradient3iPKiPKfS2_S2_fPfS3_.numbered_sgpr, 20
	.set _Z12MRCGradient3iPKiPKfS2_S2_fPfS3_.num_named_barrier, 0
	.set _Z12MRCGradient3iPKiPKfS2_S2_fPfS3_.private_seg_size, 0
	.set _Z12MRCGradient3iPKiPKfS2_S2_fPfS3_.uses_vcc, 1
	.set _Z12MRCGradient3iPKiPKfS2_S2_fPfS3_.uses_flat_scratch, 0
	.set _Z12MRCGradient3iPKiPKfS2_S2_fPfS3_.has_dyn_sized_stack, 0
	.set _Z12MRCGradient3iPKiPKfS2_S2_fPfS3_.has_recursion, 0
	.set _Z12MRCGradient3iPKiPKfS2_S2_fPfS3_.has_indirect_call, 0
	.section	.AMDGPU.csdata,"",@progbits
; Kernel info:
; codeLenInByte = 740
; TotalNumSgprs: 22
; NumVgprs: 21
; ScratchSize: 0
; MemoryBound: 0
; FloatMode: 240
; IeeeMode: 1
; LDSByteSize: 0 bytes/workgroup (compile time only)
; SGPRBlocks: 0
; VGPRBlocks: 2
; NumSGPRsForWavesPerEU: 22
; NumVGPRsForWavesPerEU: 21
; Occupancy: 16
; WaveLimiterHint : 0
; COMPUTE_PGM_RSRC2:SCRATCH_EN: 0
; COMPUTE_PGM_RSRC2:USER_SGPR: 6
; COMPUTE_PGM_RSRC2:TRAP_HANDLER: 0
; COMPUTE_PGM_RSRC2:TGID_X_EN: 1
; COMPUTE_PGM_RSRC2:TGID_Y_EN: 0
; COMPUTE_PGM_RSRC2:TGID_Z_EN: 0
; COMPUTE_PGM_RSRC2:TIDIG_COMP_CNT: 0
	.text
	.p2alignl 6, 3214868480
	.fill 48, 4, 3214868480
	.section	.AMDGPU.gpr_maximums,"",@progbits
	.set amdgpu.max_num_vgpr, 0
	.set amdgpu.max_num_agpr, 0
	.set amdgpu.max_num_sgpr, 0
	.text
	.type	__hip_cuid_d38700aa6ddeb383,@object ; @__hip_cuid_d38700aa6ddeb383
	.section	.bss,"aw",@nobits
	.globl	__hip_cuid_d38700aa6ddeb383
__hip_cuid_d38700aa6ddeb383:
	.byte	0                               ; 0x0
	.size	__hip_cuid_d38700aa6ddeb383, 1

	.ident	"AMD clang version 22.0.0git (https://github.com/RadeonOpenCompute/llvm-project roc-7.2.4 26084 f58b06dce1f9c15707c5f808fd002e18c2accf7e)"
	.section	".note.GNU-stack","",@progbits
	.addrsig
	.addrsig_sym __hip_cuid_d38700aa6ddeb383
	.amdgpu_metadata
---
amdhsa.kernels:
  - .args:
      - .offset:         0
        .size:           4
        .value_kind:     by_value
      - .address_space:  global
        .offset:         8
        .size:           8
        .value_kind:     global_buffer
      - .address_space:  global
        .offset:         16
        .size:           8
        .value_kind:     global_buffer
      - .address_space:  global
        .offset:         24
        .size:           8
        .value_kind:     global_buffer
      - .address_space:  global
        .offset:         32
        .size:           8
        .value_kind:     global_buffer
      - .offset:         40
        .size:           4
        .value_kind:     by_value
      - .actual_access:  write_only
        .address_space:  global
        .offset:         48
        .size:           8
        .value_kind:     global_buffer
      - .actual_access:  write_only
        .address_space:  global
        .offset:         56
        .size:           8
        .value_kind:     global_buffer
      - .offset:         64
        .size:           4
        .value_kind:     hidden_block_count_x
      - .offset:         68
        .size:           4
        .value_kind:     hidden_block_count_y
      - .offset:         72
        .size:           4
        .value_kind:     hidden_block_count_z
      - .offset:         76
        .size:           2
        .value_kind:     hidden_group_size_x
      - .offset:         78
        .size:           2
        .value_kind:     hidden_group_size_y
      - .offset:         80
        .size:           2
        .value_kind:     hidden_group_size_z
      - .offset:         82
        .size:           2
        .value_kind:     hidden_remainder_x
      - .offset:         84
        .size:           2
        .value_kind:     hidden_remainder_y
      - .offset:         86
        .size:           2
        .value_kind:     hidden_remainder_z
      - .offset:         104
        .size:           8
        .value_kind:     hidden_global_offset_x
      - .offset:         112
        .size:           8
        .value_kind:     hidden_global_offset_y
      - .offset:         120
        .size:           8
        .value_kind:     hidden_global_offset_z
      - .offset:         128
        .size:           2
        .value_kind:     hidden_grid_dims
    .group_segment_fixed_size: 0
    .kernarg_segment_align: 8
    .kernarg_segment_size: 320
    .language:       OpenCL C
    .language_version:
      - 2
      - 0
    .max_flat_workgroup_size: 1024
    .name:           _Z11MRCGradientiPKiPKfS2_S2_fPfS3_
    .private_segment_fixed_size: 0
    .sgpr_count:     18
    .sgpr_spill_count: 0
    .symbol:         _Z11MRCGradientiPKiPKfS2_S2_fPfS3_.kd
    .uniform_work_group_size: 1
    .uses_dynamic_stack: false
    .vgpr_count:     8
    .vgpr_spill_count: 0
    .wavefront_size: 32
    .workgroup_processor_mode: 1
  - .args:
      - .offset:         0
        .size:           4
        .value_kind:     by_value
      - .address_space:  global
        .offset:         8
        .size:           8
        .value_kind:     global_buffer
      - .address_space:  global
        .offset:         16
        .size:           8
        .value_kind:     global_buffer
      - .address_space:  global
        .offset:         24
        .size:           8
        .value_kind:     global_buffer
      - .address_space:  global
        .offset:         32
        .size:           8
        .value_kind:     global_buffer
      - .offset:         40
        .size:           4
        .value_kind:     by_value
      - .actual_access:  write_only
        .address_space:  global
        .offset:         48
        .size:           8
        .value_kind:     global_buffer
      - .actual_access:  write_only
        .address_space:  global
        .offset:         56
        .size:           8
        .value_kind:     global_buffer
      - .offset:         64
        .size:           4
        .value_kind:     hidden_block_count_x
      - .offset:         68
        .size:           4
        .value_kind:     hidden_block_count_y
      - .offset:         72
        .size:           4
        .value_kind:     hidden_block_count_z
      - .offset:         76
        .size:           2
        .value_kind:     hidden_group_size_x
      - .offset:         78
        .size:           2
        .value_kind:     hidden_group_size_y
      - .offset:         80
        .size:           2
        .value_kind:     hidden_group_size_z
      - .offset:         82
        .size:           2
        .value_kind:     hidden_remainder_x
      - .offset:         84
        .size:           2
        .value_kind:     hidden_remainder_y
      - .offset:         86
        .size:           2
        .value_kind:     hidden_remainder_z
      - .offset:         104
        .size:           8
        .value_kind:     hidden_global_offset_x
      - .offset:         112
        .size:           8
        .value_kind:     hidden_global_offset_y
      - .offset:         120
        .size:           8
        .value_kind:     hidden_global_offset_z
      - .offset:         128
        .size:           2
        .value_kind:     hidden_grid_dims
    .group_segment_fixed_size: 0
    .kernarg_segment_align: 8
    .kernarg_segment_size: 320
    .language:       OpenCL C
    .language_version:
      - 2
      - 0
    .max_flat_workgroup_size: 1024
    .name:           _Z12MRCGradient2iPKiPKfS2_S2_fPfS3_
    .private_segment_fixed_size: 0
    .sgpr_count:     18
    .sgpr_spill_count: 0
    .symbol:         _Z12MRCGradient2iPKiPKfS2_S2_fPfS3_.kd
    .uniform_work_group_size: 1
    .uses_dynamic_stack: false
    .vgpr_count:     9
    .vgpr_spill_count: 0
    .wavefront_size: 32
    .workgroup_processor_mode: 1
  - .args:
      - .offset:         0
        .size:           4
        .value_kind:     by_value
      - .address_space:  global
        .offset:         8
        .size:           8
        .value_kind:     global_buffer
      - .address_space:  global
        .offset:         16
        .size:           8
        .value_kind:     global_buffer
      - .address_space:  global
        .offset:         24
        .size:           8
        .value_kind:     global_buffer
      - .address_space:  global
        .offset:         32
        .size:           8
        .value_kind:     global_buffer
      - .offset:         40
        .size:           4
        .value_kind:     by_value
      - .actual_access:  write_only
        .address_space:  global
        .offset:         48
        .size:           8
        .value_kind:     global_buffer
      - .actual_access:  write_only
        .address_space:  global
        .offset:         56
        .size:           8
        .value_kind:     global_buffer
      - .offset:         64
        .size:           4
        .value_kind:     hidden_block_count_x
      - .offset:         68
        .size:           4
        .value_kind:     hidden_block_count_y
      - .offset:         72
        .size:           4
        .value_kind:     hidden_block_count_z
      - .offset:         76
        .size:           2
        .value_kind:     hidden_group_size_x
      - .offset:         78
        .size:           2
        .value_kind:     hidden_group_size_y
      - .offset:         80
        .size:           2
        .value_kind:     hidden_group_size_z
      - .offset:         82
        .size:           2
        .value_kind:     hidden_remainder_x
      - .offset:         84
        .size:           2
        .value_kind:     hidden_remainder_y
      - .offset:         86
        .size:           2
        .value_kind:     hidden_remainder_z
      - .offset:         104
        .size:           8
        .value_kind:     hidden_global_offset_x
      - .offset:         112
        .size:           8
        .value_kind:     hidden_global_offset_y
      - .offset:         120
        .size:           8
        .value_kind:     hidden_global_offset_z
      - .offset:         128
        .size:           2
        .value_kind:     hidden_grid_dims
    .group_segment_fixed_size: 0
    .kernarg_segment_align: 8
    .kernarg_segment_size: 320
    .language:       OpenCL C
    .language_version:
      - 2
      - 0
    .max_flat_workgroup_size: 1024
    .name:           _Z12MRCGradient3iPKiPKfS2_S2_fPfS3_
    .private_segment_fixed_size: 0
    .sgpr_count:     22
    .sgpr_spill_count: 0
    .symbol:         _Z12MRCGradient3iPKiPKfS2_S2_fPfS3_.kd
    .uniform_work_group_size: 1
    .uses_dynamic_stack: false
    .vgpr_count:     21
    .vgpr_spill_count: 0
    .wavefront_size: 32
    .workgroup_processor_mode: 1
amdhsa.target:   amdgcn-amd-amdhsa--gfx1030
amdhsa.version:
  - 1
  - 2
...

	.end_amdgpu_metadata
